;; amdgpu-corpus repo=ROCm/rocFFT kind=compiled arch=gfx1100 opt=O3
	.text
	.amdgcn_target "amdgcn-amd-amdhsa--gfx1100"
	.amdhsa_code_object_version 6
	.protected	fft_rtc_back_len90_factors_3_3_10_wgs_63_tpt_9_halfLds_sp_ip_CI_sbrr_dirReg ; -- Begin function fft_rtc_back_len90_factors_3_3_10_wgs_63_tpt_9_halfLds_sp_ip_CI_sbrr_dirReg
	.globl	fft_rtc_back_len90_factors_3_3_10_wgs_63_tpt_9_halfLds_sp_ip_CI_sbrr_dirReg
	.p2align	8
	.type	fft_rtc_back_len90_factors_3_3_10_wgs_63_tpt_9_halfLds_sp_ip_CI_sbrr_dirReg,@function
fft_rtc_back_len90_factors_3_3_10_wgs_63_tpt_9_halfLds_sp_ip_CI_sbrr_dirReg: ; @fft_rtc_back_len90_factors_3_3_10_wgs_63_tpt_9_halfLds_sp_ip_CI_sbrr_dirReg
; %bb.0:
	s_clause 0x1
	s_load_b64 s[12:13], s[0:1], 0x18
	s_load_b128 s[4:7], s[0:1], 0x0
	v_mul_u32_u24_e32 v1, 0x1c72, v0
	v_mov_b32_e32 v4, 0
	s_load_b64 s[10:11], s[0:1], 0x50
	s_waitcnt lgkmcnt(0)
	s_load_b64 s[8:9], s[12:13], 0x0
	v_lshrrev_b32_e32 v1, 16, v1
	v_cmp_lt_u64_e64 s2, s[6:7], 2
	s_delay_alu instid0(VALU_DEP_2) | instskip(SKIP_4) | instid1(VALU_DEP_1)
	v_mad_u64_u32 v[2:3], null, s15, 7, v[1:2]
	v_mov_b32_e32 v6, 0
	v_mov_b32_e32 v7, 0
	;; [unrolled: 1-line block ×3, first 2 shown]
	s_and_b32 vcc_lo, exec_lo, s2
	v_dual_mov_b32 v11, v3 :: v_dual_mov_b32 v10, v2
	s_cbranch_vccnz .LBB0_8
; %bb.1:
	s_load_b64 s[2:3], s[0:1], 0x10
	v_dual_mov_b32 v6, 0 :: v_dual_mov_b32 v9, v3
	s_add_u32 s14, s12, 8
	v_dual_mov_b32 v7, 0 :: v_dual_mov_b32 v8, v2
	s_addc_u32 s15, s13, 0
	s_mov_b64 s[18:19], 1
	s_waitcnt lgkmcnt(0)
	s_add_u32 s16, s2, 8
	s_addc_u32 s17, s3, 0
.LBB0_2:                                ; =>This Inner Loop Header: Depth=1
	s_load_b64 s[20:21], s[16:17], 0x0
                                        ; implicit-def: $vgpr10_vgpr11
	s_mov_b32 s2, exec_lo
	s_waitcnt lgkmcnt(0)
	v_or_b32_e32 v5, s21, v9
	s_delay_alu instid0(VALU_DEP_1)
	v_cmpx_ne_u64_e32 0, v[4:5]
	s_xor_b32 s3, exec_lo, s2
	s_cbranch_execz .LBB0_4
; %bb.3:                                ;   in Loop: Header=BB0_2 Depth=1
	v_cvt_f32_u32_e32 v1, s20
	v_cvt_f32_u32_e32 v3, s21
	s_sub_u32 s2, 0, s20
	s_subb_u32 s22, 0, s21
	s_delay_alu instid0(VALU_DEP_1) | instskip(NEXT) | instid1(VALU_DEP_1)
	v_fmac_f32_e32 v1, 0x4f800000, v3
	v_rcp_f32_e32 v1, v1
	s_waitcnt_depctr 0xfff
	v_mul_f32_e32 v1, 0x5f7ffffc, v1
	s_delay_alu instid0(VALU_DEP_1) | instskip(NEXT) | instid1(VALU_DEP_1)
	v_mul_f32_e32 v3, 0x2f800000, v1
	v_trunc_f32_e32 v3, v3
	s_delay_alu instid0(VALU_DEP_1) | instskip(SKIP_1) | instid1(VALU_DEP_2)
	v_fmac_f32_e32 v1, 0xcf800000, v3
	v_cvt_u32_f32_e32 v3, v3
	v_cvt_u32_f32_e32 v1, v1
	s_delay_alu instid0(VALU_DEP_2) | instskip(NEXT) | instid1(VALU_DEP_2)
	v_mul_lo_u32 v5, s2, v3
	v_mul_hi_u32 v10, s2, v1
	v_mul_lo_u32 v11, s22, v1
	s_delay_alu instid0(VALU_DEP_2) | instskip(SKIP_1) | instid1(VALU_DEP_2)
	v_add_nc_u32_e32 v5, v10, v5
	v_mul_lo_u32 v10, s2, v1
	v_add_nc_u32_e32 v5, v5, v11
	s_delay_alu instid0(VALU_DEP_2) | instskip(NEXT) | instid1(VALU_DEP_2)
	v_mul_hi_u32 v11, v1, v10
	v_mul_lo_u32 v12, v1, v5
	v_mul_hi_u32 v13, v1, v5
	v_mul_hi_u32 v14, v3, v10
	v_mul_lo_u32 v10, v3, v10
	v_mul_hi_u32 v15, v3, v5
	v_mul_lo_u32 v5, v3, v5
	v_add_co_u32 v11, vcc_lo, v11, v12
	v_add_co_ci_u32_e32 v12, vcc_lo, 0, v13, vcc_lo
	s_delay_alu instid0(VALU_DEP_2) | instskip(NEXT) | instid1(VALU_DEP_2)
	v_add_co_u32 v10, vcc_lo, v11, v10
	v_add_co_ci_u32_e32 v10, vcc_lo, v12, v14, vcc_lo
	v_add_co_ci_u32_e32 v11, vcc_lo, 0, v15, vcc_lo
	s_delay_alu instid0(VALU_DEP_2) | instskip(NEXT) | instid1(VALU_DEP_2)
	v_add_co_u32 v5, vcc_lo, v10, v5
	v_add_co_ci_u32_e32 v10, vcc_lo, 0, v11, vcc_lo
	s_delay_alu instid0(VALU_DEP_2) | instskip(NEXT) | instid1(VALU_DEP_2)
	v_add_co_u32 v1, vcc_lo, v1, v5
	v_add_co_ci_u32_e32 v3, vcc_lo, v3, v10, vcc_lo
	s_delay_alu instid0(VALU_DEP_2) | instskip(SKIP_1) | instid1(VALU_DEP_3)
	v_mul_hi_u32 v5, s2, v1
	v_mul_lo_u32 v11, s22, v1
	v_mul_lo_u32 v10, s2, v3
	s_delay_alu instid0(VALU_DEP_1) | instskip(SKIP_1) | instid1(VALU_DEP_2)
	v_add_nc_u32_e32 v5, v5, v10
	v_mul_lo_u32 v10, s2, v1
	v_add_nc_u32_e32 v5, v5, v11
	s_delay_alu instid0(VALU_DEP_2) | instskip(NEXT) | instid1(VALU_DEP_2)
	v_mul_hi_u32 v11, v1, v10
	v_mul_lo_u32 v12, v1, v5
	v_mul_hi_u32 v13, v1, v5
	v_mul_hi_u32 v14, v3, v10
	v_mul_lo_u32 v10, v3, v10
	v_mul_hi_u32 v15, v3, v5
	v_mul_lo_u32 v5, v3, v5
	v_add_co_u32 v11, vcc_lo, v11, v12
	v_add_co_ci_u32_e32 v12, vcc_lo, 0, v13, vcc_lo
	s_delay_alu instid0(VALU_DEP_2) | instskip(NEXT) | instid1(VALU_DEP_2)
	v_add_co_u32 v10, vcc_lo, v11, v10
	v_add_co_ci_u32_e32 v10, vcc_lo, v12, v14, vcc_lo
	v_add_co_ci_u32_e32 v11, vcc_lo, 0, v15, vcc_lo
	s_delay_alu instid0(VALU_DEP_2) | instskip(NEXT) | instid1(VALU_DEP_2)
	v_add_co_u32 v5, vcc_lo, v10, v5
	v_add_co_ci_u32_e32 v10, vcc_lo, 0, v11, vcc_lo
	s_delay_alu instid0(VALU_DEP_2) | instskip(NEXT) | instid1(VALU_DEP_2)
	v_add_co_u32 v1, vcc_lo, v1, v5
	v_add_co_ci_u32_e32 v3, vcc_lo, v3, v10, vcc_lo
	s_delay_alu instid0(VALU_DEP_2) | instskip(SKIP_1) | instid1(VALU_DEP_3)
	v_mul_hi_u32 v5, v8, v1
	v_mad_u64_u32 v[12:13], null, v9, v1, 0
	v_mad_u64_u32 v[10:11], null, v8, v3, 0
	v_mad_u64_u32 v[14:15], null, v9, v3, 0
	s_delay_alu instid0(VALU_DEP_2) | instskip(NEXT) | instid1(VALU_DEP_3)
	v_add_co_u32 v1, vcc_lo, v5, v10
	v_add_co_ci_u32_e32 v3, vcc_lo, 0, v11, vcc_lo
	s_delay_alu instid0(VALU_DEP_2) | instskip(NEXT) | instid1(VALU_DEP_2)
	v_add_co_u32 v1, vcc_lo, v1, v12
	v_add_co_ci_u32_e32 v1, vcc_lo, v3, v13, vcc_lo
	v_add_co_ci_u32_e32 v3, vcc_lo, 0, v15, vcc_lo
	s_delay_alu instid0(VALU_DEP_2) | instskip(NEXT) | instid1(VALU_DEP_2)
	v_add_co_u32 v1, vcc_lo, v1, v14
	v_add_co_ci_u32_e32 v3, vcc_lo, 0, v3, vcc_lo
	s_delay_alu instid0(VALU_DEP_2) | instskip(SKIP_1) | instid1(VALU_DEP_3)
	v_mul_lo_u32 v5, s21, v1
	v_mad_u64_u32 v[10:11], null, s20, v1, 0
	v_mul_lo_u32 v12, s20, v3
	s_delay_alu instid0(VALU_DEP_2) | instskip(NEXT) | instid1(VALU_DEP_2)
	v_sub_co_u32 v10, vcc_lo, v8, v10
	v_add3_u32 v5, v11, v12, v5
	s_delay_alu instid0(VALU_DEP_1) | instskip(NEXT) | instid1(VALU_DEP_1)
	v_sub_nc_u32_e32 v11, v9, v5
	v_subrev_co_ci_u32_e64 v11, s2, s21, v11, vcc_lo
	v_add_co_u32 v12, s2, v1, 2
	s_delay_alu instid0(VALU_DEP_1) | instskip(SKIP_3) | instid1(VALU_DEP_3)
	v_add_co_ci_u32_e64 v13, s2, 0, v3, s2
	v_sub_co_u32 v14, s2, v10, s20
	v_sub_co_ci_u32_e32 v5, vcc_lo, v9, v5, vcc_lo
	v_subrev_co_ci_u32_e64 v11, s2, 0, v11, s2
	v_cmp_le_u32_e32 vcc_lo, s20, v14
	s_delay_alu instid0(VALU_DEP_3) | instskip(SKIP_1) | instid1(VALU_DEP_4)
	v_cmp_eq_u32_e64 s2, s21, v5
	v_cndmask_b32_e64 v14, 0, -1, vcc_lo
	v_cmp_le_u32_e32 vcc_lo, s21, v11
	v_cndmask_b32_e64 v15, 0, -1, vcc_lo
	v_cmp_le_u32_e32 vcc_lo, s20, v10
	;; [unrolled: 2-line block ×3, first 2 shown]
	v_cndmask_b32_e64 v16, 0, -1, vcc_lo
	v_cmp_eq_u32_e32 vcc_lo, s21, v11
	s_delay_alu instid0(VALU_DEP_2) | instskip(SKIP_3) | instid1(VALU_DEP_3)
	v_cndmask_b32_e64 v5, v16, v10, s2
	v_cndmask_b32_e32 v11, v15, v14, vcc_lo
	v_add_co_u32 v14, vcc_lo, v1, 1
	v_add_co_ci_u32_e32 v15, vcc_lo, 0, v3, vcc_lo
	v_cmp_ne_u32_e32 vcc_lo, 0, v11
	s_delay_alu instid0(VALU_DEP_2) | instskip(NEXT) | instid1(VALU_DEP_4)
	v_cndmask_b32_e32 v10, v15, v13, vcc_lo
	v_cndmask_b32_e32 v12, v14, v12, vcc_lo
	v_cmp_ne_u32_e32 vcc_lo, 0, v5
	s_delay_alu instid0(VALU_DEP_2)
	v_dual_cndmask_b32 v11, v3, v10 :: v_dual_cndmask_b32 v10, v1, v12
.LBB0_4:                                ;   in Loop: Header=BB0_2 Depth=1
	s_and_not1_saveexec_b32 s2, s3
	s_cbranch_execz .LBB0_6
; %bb.5:                                ;   in Loop: Header=BB0_2 Depth=1
	v_cvt_f32_u32_e32 v1, s20
	s_sub_i32 s3, 0, s20
	v_mov_b32_e32 v11, v4
	s_delay_alu instid0(VALU_DEP_2) | instskip(SKIP_2) | instid1(VALU_DEP_1)
	v_rcp_iflag_f32_e32 v1, v1
	s_waitcnt_depctr 0xfff
	v_mul_f32_e32 v1, 0x4f7ffffe, v1
	v_cvt_u32_f32_e32 v1, v1
	s_delay_alu instid0(VALU_DEP_1) | instskip(NEXT) | instid1(VALU_DEP_1)
	v_mul_lo_u32 v3, s3, v1
	v_mul_hi_u32 v3, v1, v3
	s_delay_alu instid0(VALU_DEP_1) | instskip(NEXT) | instid1(VALU_DEP_1)
	v_add_nc_u32_e32 v1, v1, v3
	v_mul_hi_u32 v1, v8, v1
	s_delay_alu instid0(VALU_DEP_1) | instskip(SKIP_1) | instid1(VALU_DEP_2)
	v_mul_lo_u32 v3, v1, s20
	v_add_nc_u32_e32 v5, 1, v1
	v_sub_nc_u32_e32 v3, v8, v3
	s_delay_alu instid0(VALU_DEP_1) | instskip(SKIP_1) | instid1(VALU_DEP_4)
	v_cmp_le_u32_e32 vcc_lo, s20, v3
	v_subrev_nc_u32_e32 v10, s20, v3
	v_cndmask_b32_e32 v1, v1, v5, vcc_lo
	s_delay_alu instid0(VALU_DEP_1) | instskip(NEXT) | instid1(VALU_DEP_3)
	v_add_nc_u32_e32 v5, 1, v1
	v_cndmask_b32_e32 v3, v3, v10, vcc_lo
	s_delay_alu instid0(VALU_DEP_1) | instskip(NEXT) | instid1(VALU_DEP_3)
	v_cmp_le_u32_e32 vcc_lo, s20, v3
	v_cndmask_b32_e32 v10, v1, v5, vcc_lo
.LBB0_6:                                ;   in Loop: Header=BB0_2 Depth=1
	s_or_b32 exec_lo, exec_lo, s2
	s_load_b64 s[2:3], s[14:15], 0x0
	v_mul_lo_u32 v1, v11, s20
	s_delay_alu instid0(VALU_DEP_2)
	v_mul_lo_u32 v3, v10, s21
	v_mad_u64_u32 v[12:13], null, v10, s20, 0
	s_add_u32 s18, s18, 1
	s_addc_u32 s19, s19, 0
	s_add_u32 s14, s14, 8
	s_addc_u32 s15, s15, 0
	;; [unrolled: 2-line block ×3, first 2 shown]
	s_delay_alu instid0(VALU_DEP_1) | instskip(SKIP_1) | instid1(VALU_DEP_2)
	v_add3_u32 v1, v13, v3, v1
	v_sub_co_u32 v3, vcc_lo, v8, v12
	v_sub_co_ci_u32_e32 v1, vcc_lo, v9, v1, vcc_lo
	s_waitcnt lgkmcnt(0)
	s_delay_alu instid0(VALU_DEP_2) | instskip(NEXT) | instid1(VALU_DEP_2)
	v_mul_lo_u32 v5, s3, v3
	v_mul_lo_u32 v1, s2, v1
	v_mad_u64_u32 v[8:9], null, s2, v3, v[6:7]
	v_cmp_ge_u64_e64 s2, s[18:19], s[6:7]
	s_delay_alu instid0(VALU_DEP_1) | instskip(NEXT) | instid1(VALU_DEP_2)
	s_and_b32 vcc_lo, exec_lo, s2
	v_add3_u32 v7, v5, v9, v1
	s_delay_alu instid0(VALU_DEP_3)
	v_mov_b32_e32 v6, v8
	s_cbranch_vccnz .LBB0_8
; %bb.7:                                ;   in Loop: Header=BB0_2 Depth=1
	v_dual_mov_b32 v8, v10 :: v_dual_mov_b32 v9, v11
	s_branch .LBB0_2
.LBB0_8:
	s_lshl_b64 s[2:3], s[6:7], 3
	v_mul_hi_u32 v1, 0x1c71c71d, v0
	s_add_u32 s2, s12, s2
	s_addc_u32 s3, s13, s3
	s_load_b64 s[2:3], s[2:3], 0x0
	s_load_b64 s[0:1], s[0:1], 0x20
	s_delay_alu instid0(VALU_DEP_1) | instskip(NEXT) | instid1(VALU_DEP_1)
	v_mul_u32_u24_e32 v1, 9, v1
	v_sub_nc_u32_e32 v36, v0, v1
	s_delay_alu instid0(VALU_DEP_1)
	v_add_nc_u32_e32 v37, 9, v36
	v_add_nc_u32_e32 v38, 18, v36
	s_waitcnt lgkmcnt(0)
	v_mul_lo_u32 v5, s2, v11
	v_mul_lo_u32 v8, s3, v10
	v_mad_u64_u32 v[3:4], null, s2, v10, v[6:7]
	v_cmp_gt_u64_e32 vcc_lo, s[0:1], v[10:11]
	v_cmp_le_u64_e64 s0, s[0:1], v[10:11]
                                        ; implicit-def: $sgpr2
	s_delay_alu instid0(VALU_DEP_3) | instskip(NEXT) | instid1(VALU_DEP_2)
	v_add3_u32 v4, v8, v4, v5
	s_and_saveexec_b32 s1, s0
	s_delay_alu instid0(SALU_CYCLE_1)
	s_xor_b32 s0, exec_lo, s1
; %bb.9:
	v_add_nc_u32_e32 v37, 9, v36
	v_add_nc_u32_e32 v38, 18, v36
	s_mov_b32 s2, 0
; %bb.10:
	s_or_saveexec_b32 s1, s0
	v_lshlrev_b64 v[0:1], 3, v[3:4]
	v_mov_b32_e32 v35, s2
                                        ; implicit-def: $vgpr28
                                        ; implicit-def: $vgpr26
                                        ; implicit-def: $vgpr4
                                        ; implicit-def: $vgpr14
                                        ; implicit-def: $vgpr18
                                        ; implicit-def: $vgpr12
                                        ; implicit-def: $vgpr22
                                        ; implicit-def: $vgpr24
                                        ; implicit-def: $vgpr8
                                        ; implicit-def: $vgpr16
                                        ; implicit-def: $vgpr20
                                        ; implicit-def: $vgpr10
	s_xor_b32 exec_lo, exec_lo, s1
	s_cbranch_execz .LBB0_14
; %bb.11:
	v_mad_u64_u32 v[6:7], null, s8, v36, 0
	v_add_nc_u32_e32 v16, 30, v36
	v_add_nc_u32_e32 v17, 60, v36
	v_mad_u64_u32 v[12:13], null, s8, v37, 0
	v_add_nc_u32_e32 v19, 0x45, v36
	v_or_b32_e32 v32, 48, v36
	v_mov_b32_e32 v3, v7
	v_mad_u64_u32 v[8:9], null, s8, v16, 0
	v_mad_u64_u32 v[10:11], null, s8, v17, 0
	s_delay_alu instid0(VALU_DEP_3) | instskip(SKIP_1) | instid1(VALU_DEP_4)
	v_mad_u64_u32 v[4:5], null, s9, v36, v[3:4]
	v_mad_u64_u32 v[21:22], null, s8, v19, 0
	v_mov_b32_e32 v3, v9
	v_add_nc_u32_e32 v33, 0x4e, v36
	s_mov_b32 s2, exec_lo
	s_delay_alu instid0(VALU_DEP_4) | instskip(NEXT) | instid1(VALU_DEP_3)
	v_mov_b32_e32 v7, v4
	v_mad_u64_u32 v[14:15], null, s9, v16, v[3:4]
	v_mov_b32_e32 v3, v11
	v_add_co_u32 v4, s0, s10, v0
	s_delay_alu instid0(VALU_DEP_4)
	v_lshlrev_b64 v[6:7], 3, v[6:7]
	v_add_nc_u32_e32 v16, 39, v36
	v_add_co_ci_u32_e64 v5, s0, s11, v1, s0
	v_mov_b32_e32 v9, v14
	v_mad_u64_u32 v[14:15], null, s9, v17, v[3:4]
	v_mov_b32_e32 v3, v13
	v_mad_u64_u32 v[17:18], null, s8, v16, 0
	s_delay_alu instid0(VALU_DEP_4)
	v_lshlrev_b64 v[8:9], 3, v[8:9]
	v_add_co_u32 v6, s0, v4, v6
	v_mov_b32_e32 v11, v14
	v_add_co_ci_u32_e64 v7, s0, v5, v7, s0
	v_mad_u64_u32 v[13:14], null, s9, v37, v[3:4]
	v_add_co_u32 v14, s0, v4, v8
	s_delay_alu instid0(VALU_DEP_1) | instskip(SKIP_3) | instid1(VALU_DEP_3)
	v_add_co_ci_u32_e64 v15, s0, v5, v9, s0
	v_lshlrev_b64 v[8:9], 3, v[10:11]
	v_mov_b32_e32 v3, v18
	v_mad_u64_u32 v[30:31], null, s8, v33, 0
	v_add_co_u32 v23, s0, v4, v8
	s_delay_alu instid0(VALU_DEP_3) | instskip(SKIP_4) | instid1(VALU_DEP_4)
	v_mad_u64_u32 v[10:11], null, s9, v16, v[3:4]
	v_mov_b32_e32 v3, v22
	v_add_co_ci_u32_e64 v24, s0, v5, v9, s0
	v_lshlrev_b64 v[8:9], 3, v[12:13]
	v_mad_u64_u32 v[11:12], null, s8, v38, 0
	v_mad_u64_u32 v[27:28], null, s9, v19, v[3:4]
	;; [unrolled: 1-line block ×3, first 2 shown]
	v_mov_b32_e32 v18, v10
	v_add_co_u32 v25, s0, v4, v8
	s_delay_alu instid0(VALU_DEP_4)
	v_dual_mov_b32 v3, v12 :: v_dual_mov_b32 v22, v27
	v_add_co_ci_u32_e64 v26, s0, v5, v9, s0
	s_clause 0x3
	global_load_b64 v[9:10], v[6:7], off
	global_load_b64 v[19:20], v[14:15], off
	;; [unrolled: 1-line block ×4, first 2 shown]
	v_mad_u64_u32 v[12:13], null, s9, v38, v[3:4]
	v_mov_b32_e32 v3, v29
	v_lshlrev_b64 v[13:14], 3, v[17:18]
	v_lshlrev_b64 v[21:22], 3, v[21:22]
	s_delay_alu instid0(VALU_DEP_3) | instskip(SKIP_1) | instid1(VALU_DEP_4)
	v_mad_u64_u32 v[17:18], null, s9, v32, v[3:4]
	v_mov_b32_e32 v3, v31
	v_add_co_u32 v13, s0, v4, v13
	s_delay_alu instid0(VALU_DEP_1) | instskip(NEXT) | instid1(VALU_DEP_3)
	v_add_co_ci_u32_e64 v14, s0, v5, v14, s0
	v_mad_u64_u32 v[23:24], null, s9, v33, v[3:4]
	v_mov_b32_e32 v29, v17
	v_lshlrev_b64 v[11:12], 3, v[11:12]
	v_add_co_u32 v17, s0, v4, v21
	s_delay_alu instid0(VALU_DEP_1) | instskip(SKIP_3) | instid1(VALU_DEP_1)
	v_add_co_ci_u32_e64 v18, s0, v5, v22, s0
	v_mov_b32_e32 v31, v23
	v_lshlrev_b64 v[21:22], 3, v[28:29]
	v_add_co_u32 v11, s0, v4, v11
	v_add_co_ci_u32_e64 v12, s0, v5, v12, s0
	s_delay_alu instid0(VALU_DEP_4) | instskip(NEXT) | instid1(VALU_DEP_4)
	v_lshlrev_b64 v[23:24], 3, v[30:31]
	v_add_co_u32 v25, s0, v4, v21
	s_delay_alu instid0(VALU_DEP_1) | instskip(NEXT) | instid1(VALU_DEP_3)
	v_add_co_ci_u32_e64 v26, s0, v5, v22, s0
                                        ; implicit-def: $vgpr3
	v_add_co_u32 v27, s0, v4, v23
	s_delay_alu instid0(VALU_DEP_1)
	v_add_co_ci_u32_e64 v28, s0, v5, v24, s0
	s_clause 0x4
	global_load_b64 v[23:24], v[13:14], off
	global_load_b64 v[21:22], v[17:18], off
	;; [unrolled: 1-line block ×5, first 2 shown]
                                        ; implicit-def: $vgpr25
                                        ; implicit-def: $vgpr27
	v_cmpx_gt_u32_e32 3, v36
	s_cbranch_execz .LBB0_13
; %bb.12:
	v_add_nc_u32_e32 v32, 27, v36
	v_add_nc_u32_e32 v33, 57, v36
	;; [unrolled: 1-line block ×3, first 2 shown]
	s_delay_alu instid0(VALU_DEP_3) | instskip(NEXT) | instid1(VALU_DEP_3)
	v_mad_u64_u32 v[25:26], null, s8, v32, 0
	v_mad_u64_u32 v[27:28], null, s8, v33, 0
	s_delay_alu instid0(VALU_DEP_3) | instskip(NEXT) | instid1(VALU_DEP_2)
	v_mad_u64_u32 v[29:30], null, s8, v34, 0
	v_dual_mov_b32 v3, v26 :: v_dual_mov_b32 v6, v28
	s_delay_alu instid0(VALU_DEP_2) | instskip(NEXT) | instid1(VALU_DEP_2)
	v_mov_b32_e32 v26, v30
	v_mad_u64_u32 v[30:31], null, s9, v32, v[3:4]
	s_waitcnt vmcnt(5)
	s_delay_alu instid0(VALU_DEP_3) | instskip(NEXT) | instid1(VALU_DEP_3)
	v_mad_u64_u32 v[31:32], null, s9, v33, v[6:7]
	v_mad_u64_u32 v[32:33], null, s9, v34, v[26:27]
	s_delay_alu instid0(VALU_DEP_3) | instskip(NEXT) | instid1(VALU_DEP_3)
	v_mov_b32_e32 v26, v30
	v_mov_b32_e32 v28, v31
	s_delay_alu instid0(VALU_DEP_3) | instskip(NEXT) | instid1(VALU_DEP_3)
	v_mov_b32_e32 v30, v32
	v_lshlrev_b64 v[25:26], 3, v[25:26]
	s_delay_alu instid0(VALU_DEP_3) | instskip(NEXT) | instid1(VALU_DEP_3)
	v_lshlrev_b64 v[27:28], 3, v[27:28]
	v_lshlrev_b64 v[29:30], 3, v[29:30]
	s_delay_alu instid0(VALU_DEP_3) | instskip(NEXT) | instid1(VALU_DEP_1)
	v_add_co_u32 v25, s0, v4, v25
	v_add_co_ci_u32_e64 v26, s0, v5, v26, s0
	s_delay_alu instid0(VALU_DEP_4) | instskip(NEXT) | instid1(VALU_DEP_1)
	v_add_co_u32 v27, s0, v4, v27
	v_add_co_ci_u32_e64 v28, s0, v5, v28, s0
	v_add_co_u32 v29, s0, v4, v29
	s_delay_alu instid0(VALU_DEP_1)
	v_add_co_ci_u32_e64 v30, s0, v5, v30, s0
	s_clause 0x2
	global_load_b64 v[3:4], v[25:26], off
	global_load_b64 v[25:26], v[27:28], off
	;; [unrolled: 1-line block ×3, first 2 shown]
.LBB0_13:
	s_or_b32 exec_lo, exec_lo, s2
	v_mov_b32_e32 v35, v36
.LBB0_14:
	s_or_b32 exec_lo, exec_lo, s1
	v_mul_hi_u32 v5, 0x24924925, v2
	s_waitcnt vmcnt(3)
	v_dual_add_f32 v32, v19, v9 :: v_dual_add_f32 v39, v21, v23
	v_dual_add_f32 v33, v15, v19 :: v_dual_sub_f32 v34, v20, v16
	s_waitcnt vmcnt(0)
	v_dual_add_f32 v42, v13, v17 :: v_dual_sub_f32 v43, v18, v14
	v_dual_add_f32 v44, v25, v3 :: v_dual_add_f32 v45, v27, v25
	v_sub_nc_u32_e32 v6, v2, v5
	v_dual_sub_f32 v40, v24, v22 :: v_dual_add_f32 v41, v17, v11
	v_dual_sub_f32 v48, v26, v28 :: v_dual_fmac_f32 v9, -0.5, v33
	s_delay_alu instid0(VALU_DEP_3)
	v_lshrrev_b32_e32 v6, 1, v6
	v_mad_u32_u24 v29, v36, 12, 0
	v_mad_i32_i24 v30, v37, 12, 0
	v_mad_i32_i24 v31, v38, 12, 0
	v_fmac_f32_e32 v11, -0.5, v42
	v_dual_add_f32 v6, v23, v7 :: v_dual_add_nc_u32 v5, v6, v5
	v_cmp_gt_u32_e64 s0, 3, v36
	v_add_f32_e32 v32, v15, v32
	s_delay_alu instid0(VALU_DEP_3) | instskip(NEXT) | instid1(VALU_DEP_4)
	v_lshrrev_b32_e32 v5, 2, v5
	v_add_f32_e32 v33, v21, v6
	s_delay_alu instid0(VALU_DEP_2) | instskip(NEXT) | instid1(VALU_DEP_1)
	v_mul_lo_u32 v5, v5, 7
	v_sub_nc_u32_e32 v2, v2, v5
	s_delay_alu instid0(VALU_DEP_1) | instskip(NEXT) | instid1(VALU_DEP_1)
	v_mul_u32_u24_e32 v2, 0x5a, v2
	v_dual_fmac_f32 v7, -0.5, v39 :: v_dual_lshlrev_b32 v42, 2, v2
	v_fmac_f32_e32 v3, -0.5, v45
	v_add_f32_e32 v39, v13, v41
	v_add_f32_e32 v5, v27, v44
	s_delay_alu instid0(VALU_DEP_4)
	v_dual_fmamk_f32 v41, v34, 0xbf5db3d7, v9 :: v_dual_add_nc_u32 v46, v29, v42
	v_fmac_f32_e32 v9, 0x3f5db3d7, v34
	v_fmamk_f32 v34, v40, 0xbf5db3d7, v7
	v_fmac_f32_e32 v7, 0x3f5db3d7, v40
	v_dual_fmamk_f32 v40, v43, 0xbf5db3d7, v11 :: v_dual_add_nc_u32 v47, v30, v42
	v_fmamk_f32 v6, v48, 0xbf5db3d7, v3
	v_dual_fmac_f32 v3, 0x3f5db3d7, v48 :: v_dual_add_nc_u32 v48, v31, v42
	v_fmac_f32_e32 v11, 0x3f5db3d7, v43
	ds_store_2addr_b32 v46, v32, v41 offset1:1
	ds_store_b32 v46, v9 offset:8
	ds_store_2addr_b32 v47, v33, v34 offset1:1
	ds_store_b32 v47, v7 offset:8
	;; [unrolled: 2-line block ×3, first 2 shown]
	s_and_saveexec_b32 s1, s0
	s_cbranch_execz .LBB0_16
; %bb.15:
	v_lshl_add_u32 v2, v2, 2, v29
	ds_store_2addr_b32 v2, v5, v6 offset0:81 offset1:82
	ds_store_b32 v2, v3 offset:332
.LBB0_16:
	s_or_b32 exec_lo, exec_lo, s1
	v_lshlrev_b32_e32 v2, 3, v36
	v_lshlrev_b32_e32 v7, 3, v37
	v_lshlrev_b32_e32 v9, 3, v38
	s_waitcnt lgkmcnt(0)
	s_barrier
	v_sub_nc_u32_e32 v11, v29, v2
	v_lshlrev_b32_e32 v2, 2, v36
	v_sub_nc_u32_e32 v7, v30, v7
	v_sub_nc_u32_e32 v9, v31, v9
	buffer_gl0_inv
	v_add_nc_u32_e32 v49, v11, v42
	v_add3_u32 v40, 0, v42, v2
	v_add_nc_u32_e32 v39, v7, v42
	v_add_nc_u32_e32 v41, v9, v42
	ds_load_2addr_b32 v[33:34], v49 offset0:30 offset1:39
	ds_load_2addr_b32 v[31:32], v49 offset0:48 offset1:60
	;; [unrolled: 1-line block ×3, first 2 shown]
	ds_load_b32 v45, v40
	ds_load_b32 v44, v39
	;; [unrolled: 1-line block ×3, first 2 shown]
	s_and_saveexec_b32 s1, s0
	s_cbranch_execz .LBB0_18
; %bb.17:
	ds_load_2addr_b32 v[5:6], v49 offset0:27 offset1:57
	ds_load_b32 v3, v49 offset:348
.LBB0_18:
	s_or_b32 exec_lo, exec_lo, s1
	v_sub_f32_e32 v11, v19, v15
	v_add_f32_e32 v15, v22, v24
	v_add_f32_e32 v7, v16, v20
	;; [unrolled: 1-line block ×3, first 2 shown]
	v_sub_f32_e32 v19, v23, v21
	s_waitcnt lgkmcnt(0)
	s_barrier
	v_dual_fmac_f32 v10, -0.5, v7 :: v_dual_add_f32 v7, v24, v8
	v_fmac_f32_e32 v8, -0.5, v15
	buffer_gl0_inv
	v_fmamk_f32 v15, v11, 0x3f5db3d7, v10
	v_dual_fmac_f32 v10, 0xbf5db3d7, v11 :: v_dual_add_f32 v11, v14, v18
	v_add_f32_e32 v18, v18, v12
	s_delay_alu instid0(VALU_DEP_2)
	v_dual_fmac_f32 v12, -0.5, v11 :: v_dual_add_f32 v9, v16, v9
	v_fmamk_f32 v16, v19, 0x3f5db3d7, v8
	v_dual_fmac_f32 v8, 0xbf5db3d7, v19 :: v_dual_sub_f32 v11, v17, v13
	v_add_f32_e32 v19, v28, v26
	v_add_f32_e32 v7, v22, v7
	v_sub_f32_e32 v17, v25, v27
	s_delay_alu instid0(VALU_DEP_4) | instskip(SKIP_3) | instid1(VALU_DEP_2)
	v_dual_add_f32 v13, v26, v4 :: v_dual_fmamk_f32 v20, v11, 0x3f5db3d7, v12
	v_fmac_f32_e32 v12, 0xbf5db3d7, v11
	v_dual_fmac_f32 v4, -0.5, v19 :: v_dual_add_f32 v19, v14, v18
	v_add_nc_u32_e32 v18, 27, v36
	v_fmamk_f32 v14, v17, 0x3f5db3d7, v4
	v_fmac_f32_e32 v4, 0xbf5db3d7, v17
	v_add_f32_e32 v13, v28, v13
	ds_store_2addr_b32 v46, v9, v15 offset1:1
	ds_store_b32 v46, v10 offset:8
	ds_store_2addr_b32 v47, v7, v16 offset1:1
	ds_store_b32 v47, v8 offset:8
	;; [unrolled: 2-line block ×3, first 2 shown]
	s_and_saveexec_b32 s1, s0
	s_cbranch_execz .LBB0_20
; %bb.19:
	v_mul_u32_u24_e32 v7, 12, v18
	s_delay_alu instid0(VALU_DEP_1)
	v_add3_u32 v7, 0, v7, v42
	ds_store_2addr_b32 v7, v13, v14 offset1:1
	ds_store_b32 v7, v4 offset:8
.LBB0_20:
	s_or_b32 exec_lo, exec_lo, s1
	s_waitcnt lgkmcnt(0)
	s_barrier
	buffer_gl0_inv
	ds_load_2addr_b32 v[11:12], v49 offset0:30 offset1:39
	ds_load_2addr_b32 v[7:8], v49 offset0:48 offset1:60
	;; [unrolled: 1-line block ×3, first 2 shown]
	ds_load_b32 v17, v40
	ds_load_b32 v16, v39
	;; [unrolled: 1-line block ×3, first 2 shown]
	s_and_saveexec_b32 s1, s0
	s_cbranch_execz .LBB0_22
; %bb.21:
	ds_load_2addr_b32 v[13:14], v49 offset0:27 offset1:57
	ds_load_b32 v4, v49 offset:348
.LBB0_22:
	s_or_b32 exec_lo, exec_lo, s1
	v_and_b32_e32 v19, 0xff, v36
	v_and_b32_e32 v20, 0xff, v37
	s_delay_alu instid0(VALU_DEP_2) | instskip(NEXT) | instid1(VALU_DEP_2)
	v_mul_lo_u16 v19, 0xab, v19
	v_mul_lo_u16 v20, 0xab, v20
	s_delay_alu instid0(VALU_DEP_2) | instskip(NEXT) | instid1(VALU_DEP_2)
	v_lshrrev_b16 v19, 9, v19
	v_lshrrev_b16 v20, 9, v20
	s_delay_alu instid0(VALU_DEP_2) | instskip(NEXT) | instid1(VALU_DEP_2)
	v_mul_lo_u16 v23, v19, 3
	v_mul_lo_u16 v24, v20, 3
	s_delay_alu instid0(VALU_DEP_2) | instskip(NEXT) | instid1(VALU_DEP_2)
	v_sub_nc_u16 v23, v36, v23
	v_sub_nc_u16 v24, v37, v24
	s_delay_alu instid0(VALU_DEP_2) | instskip(NEXT) | instid1(VALU_DEP_1)
	v_and_b32_e32 v23, 0xff, v23
	v_lshlrev_b32_e32 v26, 4, v23
	global_load_b128 v[46:49], v26, s[4:5]
	v_and_b32_e32 v21, 0xff, v38
	v_and_b32_e32 v22, 0xff, v18
	;; [unrolled: 1-line block ×3, first 2 shown]
	s_delay_alu instid0(VALU_DEP_3) | instskip(NEXT) | instid1(VALU_DEP_3)
	v_mul_lo_u16 v21, 0xab, v21
	v_mul_lo_u16 v22, 0xab, v22
	s_delay_alu instid0(VALU_DEP_2) | instskip(NEXT) | instid1(VALU_DEP_2)
	v_lshrrev_b16 v21, 9, v21
	v_lshrrev_b16 v22, 9, v22
	s_delay_alu instid0(VALU_DEP_2) | instskip(NEXT) | instid1(VALU_DEP_2)
	v_mul_lo_u16 v25, v21, 3
	v_mul_lo_u16 v22, v22, 3
	s_delay_alu instid0(VALU_DEP_2) | instskip(NEXT) | instid1(VALU_DEP_2)
	v_sub_nc_u16 v25, v38, v25
	v_sub_nc_u16 v18, v18, v22
	s_delay_alu instid0(VALU_DEP_2) | instskip(SKIP_1) | instid1(VALU_DEP_3)
	v_and_b32_e32 v22, 0xff, v25
	v_lshlrev_b32_e32 v25, 4, v24
	v_and_b32_e32 v18, 0xff, v18
	global_load_b128 v[50:53], v25, s[4:5]
	v_lshlrev_b32_e32 v26, 4, v22
	v_lshlrev_b32_e32 v25, 4, v18
	s_clause 0x1
	global_load_b128 v[54:57], v26, s[4:5]
	global_load_b128 v[58:61], v25, s[4:5]
	v_and_b32_e32 v20, 0xffff, v20
	v_and_b32_e32 v21, 0xffff, v21
	v_lshlrev_b32_e32 v22, 2, v22
	s_waitcnt vmcnt(0) lgkmcnt(0)
	s_barrier
	v_mad_u32_u24 v20, v20, 36, 0
	v_mad_u32_u24 v25, v21, 36, 0
	buffer_gl0_inv
	v_mul_f32_e32 v28, v11, v47
	v_and_b32_e32 v19, 0xffff, v19
	v_dual_mul_f32 v38, v33, v47 :: v_dual_mul_f32 v47, v32, v49
	v_lshlrev_b32_e32 v24, 2, v24
	s_delay_alu instid0(VALU_DEP_4) | instskip(NEXT) | instid1(VALU_DEP_4)
	v_fmac_f32_e32 v28, v33, v46
	v_mad_u32_u24 v19, v19, 36, 0
	v_mul_f32_e32 v37, v8, v49
	v_fma_f32 v33, v11, v46, -v38
	v_fma_f32 v8, v8, v48, -v47
	v_dual_mul_f32 v26, v9, v53 :: v_dual_lshlrev_b32 v21, 2, v23
	s_delay_alu instid0(VALU_DEP_1) | instskip(NEXT) | instid1(VALU_DEP_2)
	v_dual_mul_f32 v49, v34, v51 :: v_dual_fmac_f32 v26, v29, v52
	v_add3_u32 v23, v19, v21, v42
	v_mul_f32_e32 v19, v14, v59
	v_add3_u32 v21, v20, v24, v42
	v_dual_mul_f32 v24, v12, v51 :: v_dual_mul_f32 v51, v29, v53
	v_add3_u32 v20, v25, v22, v42
	v_mul_f32_e32 v25, v7, v55
	v_mul_f32_e32 v53, v31, v55
	;; [unrolled: 1-line block ×4, first 2 shown]
	v_fma_f32 v11, v12, v50, -v49
	v_fma_f32 v29, v9, v52, -v51
	v_dual_mul_f32 v57, v6, v59 :: v_dual_lshlrev_b32 v18, 2, v18
	v_mul_f32_e32 v59, v3, v61
	v_dual_fmac_f32 v37, v32, v48 :: v_dual_fmac_f32 v24, v34, v50
	v_fmac_f32_e32 v27, v30, v56
	v_fma_f32 v30, v10, v56, -v55
	v_sub_f32_e32 v10, v11, v29
	v_dual_fmac_f32 v25, v31, v54 :: v_dual_mul_f32 v22, v4, v61
	v_fma_f32 v12, v4, v60, -v59
	v_dual_add_f32 v4, v28, v37 :: v_dual_fmac_f32 v19, v6, v58
	v_dual_sub_f32 v6, v33, v8 :: v_dual_add_f32 v9, v24, v26
	v_fma_f32 v31, v7, v54, -v53
	v_dual_add_f32 v32, v43, v25 :: v_dual_add_f32 v7, v44, v24
	v_add_f32_e32 v34, v25, v27
	v_fmac_f32_e32 v22, v3, v60
	s_delay_alu instid0(VALU_DEP_4) | instskip(NEXT) | instid1(VALU_DEP_4)
	v_dual_add_f32 v3, v45, v28 :: v_dual_sub_f32 v38, v31, v30
	v_dual_fmac_f32 v45, -0.5, v4 :: v_dual_add_f32 v4, v7, v26
	v_dual_fmac_f32 v44, -0.5, v9 :: v_dual_add_f32 v7, v32, v27
	v_fmac_f32_e32 v43, -0.5, v34
	v_fma_f32 v14, v14, v58, -v57
	v_add_f32_e32 v3, v3, v37
	v_fmamk_f32 v9, v6, 0xbf5db3d7, v45
	v_fmac_f32_e32 v45, 0x3f5db3d7, v6
	v_fmamk_f32 v6, v10, 0xbf5db3d7, v44
	v_fmac_f32_e32 v44, 0x3f5db3d7, v10
	;; [unrolled: 2-line block ×3, first 2 shown]
	ds_store_2addr_b32 v23, v3, v9 offset1:3
	ds_store_b32 v23, v45 offset:24
	ds_store_2addr_b32 v21, v4, v6 offset1:3
	ds_store_b32 v21, v44 offset:24
	;; [unrolled: 2-line block ×3, first 2 shown]
	s_and_saveexec_b32 s1, s0
	s_cbranch_execz .LBB0_24
; %bb.23:
	v_dual_add_f32 v3, v19, v22 :: v_dual_sub_f32 v4, v14, v12
	s_delay_alu instid0(VALU_DEP_1) | instskip(SKIP_2) | instid1(VALU_DEP_2)
	v_fma_f32 v3, -0.5, v3, v5
	v_add_f32_e32 v6, v5, v19
	v_add3_u32 v5, 0, v18, v42
	v_dual_fmamk_f32 v7, v4, 0x3f5db3d7, v3 :: v_dual_add_f32 v6, v6, v22
	v_fmac_f32_e32 v3, 0xbf5db3d7, v4
	ds_store_2addr_b32 v5, v6, v3 offset0:81 offset1:84
	ds_store_b32 v5, v7 offset:348
.LBB0_24:
	s_or_b32 exec_lo, exec_lo, s1
	v_dual_add_f32 v3, v33, v8 :: v_dual_add_f32 v6, v11, v29
	v_add_f32_e32 v4, v17, v33
	v_sub_f32_e32 v5, v28, v37
	v_add3_u32 v28, 0, v2, v42
	s_delay_alu instid0(VALU_DEP_4) | instskip(SKIP_3) | instid1(VALU_DEP_3)
	v_fmac_f32_e32 v17, -0.5, v3
	v_add_f32_e32 v32, v16, v11
	v_dual_fmac_f32 v16, -0.5, v6 :: v_dual_add_f32 v33, v4, v8
	s_waitcnt lgkmcnt(0)
	v_fmamk_f32 v34, v5, 0x3f5db3d7, v17
	v_fmac_f32_e32 v17, 0xbf5db3d7, v5
	s_barrier
	buffer_gl0_inv
	ds_load_2addr_b32 v[2:3], v28 offset0:27 offset1:36
	ds_load_2addr_b32 v[4:5], v28 offset0:45 offset1:54
	;; [unrolled: 1-line block ×3, first 2 shown]
	ds_load_b32 v8, v40
	ds_load_b32 v10, v39
	;; [unrolled: 1-line block ×3, first 2 shown]
	ds_load_b32 v11, v28 offset:324
	v_sub_f32_e32 v24, v24, v26
	v_add_f32_e32 v37, v31, v30
	v_add_f32_e32 v26, v15, v31
	v_sub_f32_e32 v25, v25, v27
	v_add_f32_e32 v27, v32, v29
	v_fmamk_f32 v29, v24, 0x3f5db3d7, v16
	v_dual_fmac_f32 v16, 0xbf5db3d7, v24 :: v_dual_fmac_f32 v15, -0.5, v37
	v_add_f32_e32 v24, v26, v30
	s_waitcnt lgkmcnt(0)
	s_barrier
	buffer_gl0_inv
	v_fmamk_f32 v26, v25, 0x3f5db3d7, v15
	v_fmac_f32_e32 v15, 0xbf5db3d7, v25
	ds_store_2addr_b32 v23, v33, v34 offset1:3
	ds_store_b32 v23, v17 offset:24
	ds_store_2addr_b32 v21, v27, v29 offset1:3
	ds_store_b32 v21, v16 offset:24
	;; [unrolled: 2-line block ×3, first 2 shown]
	s_and_saveexec_b32 s1, s0
	s_cbranch_execz .LBB0_26
; %bb.25:
	v_dual_add_f32 v15, v14, v12 :: v_dual_add_f32 v14, v13, v14
	s_delay_alu instid0(VALU_DEP_1) | instskip(SKIP_1) | instid1(VALU_DEP_3)
	v_dual_sub_f32 v16, v19, v22 :: v_dual_fmac_f32 v13, -0.5, v15
	v_add3_u32 v15, 0, v18, v42
	v_add_f32_e32 v12, v14, v12
	s_delay_alu instid0(VALU_DEP_3)
	v_fmamk_f32 v14, v16, 0x3f5db3d7, v13
	v_fmamk_f32 v13, v16, 0xbf5db3d7, v13
	ds_store_2addr_b32 v15, v12, v14 offset0:81 offset1:84
	ds_store_b32 v15, v13 offset:348
.LBB0_26:
	s_or_b32 exec_lo, exec_lo, s1
	s_waitcnt lgkmcnt(0)
	s_barrier
	buffer_gl0_inv
	s_and_saveexec_b32 s0, vcc_lo
	s_cbranch_execz .LBB0_28
; %bb.27:
	v_mul_u32_u24_e32 v12, 9, v36
	v_add_co_u32 v70, vcc_lo, s10, v0
	v_add_nc_u32_e32 v62, 36, v35
	v_add_co_ci_u32_e32 v71, vcc_lo, s11, v1, vcc_lo
	s_delay_alu instid0(VALU_DEP_4)
	v_lshlrev_b32_e32 v29, 3, v12
	s_clause 0x4
	global_load_b128 v[12:15], v29, s[4:5] offset:48
	global_load_b128 v[16:19], v29, s[4:5] offset:64
	;; [unrolled: 1-line block ×4, first 2 shown]
	global_load_b64 v[29:30], v29, s[4:5] offset:112
	v_add_nc_u32_e32 v61, 27, v35
	ds_load_2addr_b32 v[31:32], v28 offset0:27 offset1:36
	ds_load_2addr_b32 v[33:34], v28 offset0:63 offset1:72
	ds_load_2addr_b32 v[36:37], v28 offset0:45 offset1:54
	ds_load_b32 v66, v40
	ds_load_b32 v67, v28 offset:324
	ds_load_b32 v68, v41
	ds_load_b32 v69, v39
	v_mad_u64_u32 v[38:39], null, s8, v35, 0
	v_add_nc_u32_e32 v63, 45, v35
	v_mad_u64_u32 v[42:43], null, s8, v61, 0
	v_add_nc_u32_e32 v60, 18, v35
	v_mad_u64_u32 v[44:45], null, s8, v62, 0
	v_mov_b32_e32 v28, v39
	v_mad_u64_u32 v[46:47], null, s8, v63, 0
	s_delay_alu instid0(VALU_DEP_4)
	v_mad_u64_u32 v[40:41], null, s8, v60, 0
	v_add_nc_u32_e32 v59, 9, v35
	v_add_nc_u32_e32 v64, 54, v35
	;; [unrolled: 1-line block ×4, first 2 shown]
	v_mov_b32_e32 v39, v45
	s_delay_alu instid0(VALU_DEP_3) | instskip(NEXT) | instid1(VALU_DEP_1)
	v_mad_u64_u32 v[50:51], null, s8, v65, 0
	v_mov_b32_e32 v45, v51
	s_waitcnt vmcnt(0)
	v_mad_u64_u32 v[56:57], null, s9, v35, v[28:29]
	v_mov_b32_e32 v28, v41
	v_mad_u64_u32 v[0:1], null, s8, v59, 0
	v_mov_b32_e32 v41, v47
	v_mad_u64_u32 v[48:49], null, s8, v64, 0
	v_dual_mov_b32 v35, v43 :: v_dual_add_nc_u32 v72, 0x48, v35
	s_delay_alu instid0(VALU_DEP_4) | instskip(SKIP_1) | instid1(VALU_DEP_4)
	v_mad_u64_u32 v[57:58], null, s9, v59, v[1:2]
	v_mad_u64_u32 v[58:59], null, s9, v60, v[28:29]
	v_mov_b32_e32 v43, v49
	s_waitcnt lgkmcnt(4)
	v_mad_u64_u32 v[59:60], null, s9, v61, v[35:36]
	v_mad_u64_u32 v[52:53], null, s8, v72, 0
	;; [unrolled: 1-line block ×4, first 2 shown]
	v_mov_b32_e32 v41, v58
	v_mul_f32_e32 v58, v2, v16
	v_mul_f32_e32 v2, v2, v17
	v_mad_u64_u32 v[54:55], null, s8, v73, 0
	v_mov_b32_e32 v47, v53
	v_mad_u64_u32 v[62:63], null, s9, v64, v[43:44]
	v_mov_b32_e32 v43, v59
	v_mul_f32_e32 v59, v4, v24
	v_dual_mul_f32 v4, v4, v25 :: v_dual_mov_b32 v49, v55
	v_mov_b32_e32 v39, v56
	v_mad_u64_u32 v[55:56], null, s9, v72, v[47:48]
	v_mul_f32_e32 v28, v9, v15
	v_mad_u64_u32 v[63:64], null, s9, v65, v[45:46]
	v_dual_mov_b32 v45, v60 :: v_dual_mul_f32 v56, v7, v23
	v_mul_f32_e32 v60, v11, v29
	v_fma_f32 v2, v31, v16, -v2
	v_fma_f32 v4, v36, v24, -v4
	v_mul_f32_e32 v35, v3, v19
	v_mov_b32_e32 v1, v57
	v_mul_f32_e32 v57, v5, v27
	s_waitcnt lgkmcnt(1)
	v_fma_f32 v28, v68, v14, -v28
	v_fmac_f32_e32 v58, v31, v17
	v_dual_fmac_f32 v59, v36, v25 :: v_dual_fmac_f32 v60, v67, v30
	v_mul_f32_e32 v15, v68, v15
	v_mul_f32_e32 v19, v32, v19
	v_fma_f32 v32, v32, v18, -v35
	v_mul_f32_e32 v23, v34, v23
	v_fma_f32 v34, v34, v22, -v56
	v_mul_f32_e32 v27, v37, v27
	v_mad_u64_u32 v[64:65], null, s9, v73, v[49:50]
	v_fma_f32 v35, v37, v26, -v57
	v_mov_b32_e32 v47, v61
	v_dual_mul_f32 v11, v11, v30 :: v_dual_sub_f32 v24, v58, v60
	v_add_f32_e32 v30, v28, v34
	s_delay_alu instid0(VALU_DEP_4)
	v_dual_sub_f32 v68, v32, v35 :: v_dual_sub_f32 v31, v59, v58
	v_dual_fmac_f32 v27, v5, v26 :: v_dual_sub_f32 v26, v32, v28
	v_fmac_f32_e32 v23, v7, v22
	v_dual_fmac_f32 v15, v9, v14 :: v_dual_add_f32 v36, v58, v60
	v_fmac_f32_e32 v19, v3, v18
	v_mov_b32_e32 v49, v62
	v_mul_f32_e32 v61, v6, v20
	v_mul_f32_e32 v62, v10, v12
	;; [unrolled: 1-line block ×4, first 2 shown]
	v_fma_f32 v3, v67, v29, -v11
	v_fmac_f32_e32 v61, v33, v21
	v_lshlrev_b64 v[38:39], 3, v[38:39]
	v_fma_f32 v5, v33, v20, -v6
	s_waitcnt lgkmcnt(0)
	v_fma_f32 v6, v69, v12, -v10
	v_dual_add_f32 v10, v32, v35 :: v_dual_mov_b32 v51, v63
	s_delay_alu instid0(VALU_DEP_3)
	v_dual_mov_b32 v53, v55 :: v_dual_sub_f32 v18, v4, v5
	v_lshlrev_b64 v[0:1], 3, v[0:1]
	v_dual_fmac_f32 v62, v69, v13 :: v_dual_sub_f32 v7, v28, v32
	v_sub_f32_e32 v17, v2, v3
	v_sub_f32_e32 v20, v2, v4
	v_dual_add_f32 v22, v4, v5 :: v_dual_add_f32 v57, v2, v3
	v_add_f32_e32 v63, v28, v66
	v_sub_f32_e32 v28, v28, v34
	v_sub_f32_e32 v14, v60, v61
	v_fma_f32 v10, -0.5, v10, v66
	v_sub_f32_e32 v37, v4, v2
	v_dual_add_f32 v2, v2, v6 :: v_dual_mov_b32 v55, v64
	v_dual_add_f32 v16, v59, v61 :: v_dual_sub_f32 v9, v34, v35
	v_sub_f32_e32 v13, v58, v59
	v_lshlrev_b64 v[40:41], 3, v[40:41]
	v_add_co_u32 v38, vcc_lo, v70, v38
	v_add_co_ci_u32_e32 v39, vcc_lo, v71, v39, vcc_lo
	v_dual_sub_f32 v21, v3, v5 :: v_dual_add_f32 v58, v58, v62
	v_dual_add_f32 v2, v4, v2 :: v_dual_add_f32 v7, v7, v9
	v_add_f32_e32 v9, v13, v14
	v_fma_f32 v13, -0.5, v16, v62
	v_fma_f32 v16, -0.5, v22, v6
	;; [unrolled: 1-line block ×3, first 2 shown]
	v_sub_f32_e32 v29, v35, v34
	v_lshlrev_b64 v[42:43], 3, v[42:43]
	v_add_co_u32 v0, vcc_lo, v70, v0
	v_add_co_ci_u32_e32 v1, vcc_lo, v71, v1, vcc_lo
	v_lshlrev_b64 v[44:45], 3, v[44:45]
	v_add_co_u32 v40, vcc_lo, v70, v40
	v_add_f32_e32 v14, v20, v21
	v_dual_add_f32 v20, v26, v29 :: v_dual_sub_f32 v33, v61, v60
	v_add_co_ci_u32_e32 v41, vcc_lo, v71, v41, vcc_lo
	v_lshlrev_b64 v[46:47], 3, v[46:47]
	v_add_co_u32 v42, vcc_lo, v70, v42
	v_add_co_ci_u32_e32 v43, vcc_lo, v71, v43, vcc_lo
	v_add_co_u32 v44, vcc_lo, v70, v44
	v_add_f32_e32 v22, v31, v33
	v_sub_f32_e32 v12, v19, v27
	v_lshlrev_b64 v[48:49], 3, v[48:49]
	v_add_co_ci_u32_e32 v45, vcc_lo, v71, v45, vcc_lo
	v_lshlrev_b64 v[50:51], 3, v[50:51]
	v_add_co_u32 v46, vcc_lo, v70, v46
	v_add_co_ci_u32_e32 v47, vcc_lo, v71, v47, vcc_lo
	v_lshlrev_b64 v[52:53], 3, v[52:53]
	v_add_co_u32 v48, vcc_lo, v70, v48
	;; [unrolled: 3-line block ×3, first 2 shown]
	v_add_co_ci_u32_e32 v51, vcc_lo, v71, v51, vcc_lo
	v_add_co_u32 v52, vcc_lo, v70, v52
	v_fma_f32 v26, -0.5, v36, v62
	v_add_co_ci_u32_e32 v53, vcc_lo, v71, v53, vcc_lo
	v_add_co_u32 v54, vcc_lo, v70, v54
	v_add_co_ci_u32_e32 v55, vcc_lo, v71, v55, vcc_lo
	v_sub_f32_e32 v56, v5, v3
	v_dual_sub_f32 v65, v23, v27 :: v_dual_add_f32 v2, v5, v2
	v_add_f32_e32 v67, v19, v27
	v_sub_f32_e32 v70, v27, v23
	v_sub_f32_e32 v64, v15, v19
	;; [unrolled: 1-line block ×4, first 2 shown]
	v_fma_f32 v21, -0.5, v30, v66
	v_fmamk_f32 v57, v18, 0xbf737871, v26
	v_dual_fmac_f32 v26, 0x3f737871, v18 :: v_dual_add_f32 v71, v15, v23
	v_add_f32_e32 v15, v8, v15
	v_add_f32_e32 v4, v64, v65
	v_fma_f32 v31, -0.5, v67, v8
	s_delay_alu instid0(VALU_DEP_4) | instskip(NEXT) | instid1(VALU_DEP_4)
	v_fma_f32 v33, -0.5, v71, v8
	v_add_f32_e32 v8, v15, v19
	v_fmamk_f32 v19, v11, 0xbf737871, v10
	v_dual_fmac_f32 v10, 0x3f737871, v11 :: v_dual_add_f32 v29, v37, v56
	v_dual_fmamk_f32 v56, v12, 0x3f737871, v21 :: v_dual_sub_f32 v25, v59, v61
	v_dual_fmamk_f32 v36, v17, 0x3f737871, v13 :: v_dual_add_f32 v15, v59, v58
	v_fmamk_f32 v37, v24, 0xbf737871, v16
	v_fmac_f32_e32 v16, 0x3f737871, v24
	s_delay_alu instid0(VALU_DEP_4) | instskip(SKIP_2) | instid1(VALU_DEP_4)
	v_fmamk_f32 v58, v25, 0x3f737871, v6
	v_dual_fmac_f32 v6, 0xbf737871, v25 :: v_dual_add_f32 v5, v8, v27
	v_fmac_f32_e32 v10, 0x3f167918, v12
	v_fmac_f32_e32 v16, 0x3f167918, v25
	s_delay_alu instid0(VALU_DEP_4) | instskip(NEXT) | instid1(VALU_DEP_4)
	v_fmac_f32_e32 v58, 0xbf167918, v24
	v_fmac_f32_e32 v6, 0x3f167918, v24
	v_add_f32_e32 v8, v61, v15
	v_fmac_f32_e32 v36, 0x3f167918, v18
	v_fmac_f32_e32 v26, 0xbf167918, v17
	v_add_f32_e32 v15, v23, v5
	;; [unrolled: 3-line block ×3, first 2 shown]
	v_dual_fmac_f32 v19, 0xbf167918, v12 :: v_dual_add_f32 v12, v3, v2
	v_fmac_f32_e32 v16, 0x3e9e377a, v14
	v_dual_fmac_f32 v37, 0xbf167918, v25 :: v_dual_fmac_f32 v56, 0xbf167918, v11
	v_fmac_f32_e32 v26, 0x3e9e377a, v22
	v_sub_f32_e32 v2, v15, v8
	s_delay_alu instid0(VALU_DEP_4) | instskip(NEXT) | instid1(VALU_DEP_4)
	v_mul_f32_e32 v24, 0xbf167918, v16
	v_dual_fmac_f32 v36, 0x3e9e377a, v9 :: v_dual_fmac_f32 v37, 0x3e9e377a, v14
	v_fmac_f32_e32 v57, 0x3f167918, v17
	v_fmac_f32_e32 v6, 0x3e9e377a, v29
	v_add_f32_e32 v30, v32, v63
	v_mul_f32_e32 v14, 0xbe9e377a, v58
	v_fmac_f32_e32 v13, 0xbf737871, v17
	v_fmac_f32_e32 v57, 0x3e9e377a, v22
	v_mul_f32_e32 v23, 0xbf737871, v6
	v_dual_add_f32 v30, v35, v30 :: v_dual_fmamk_f32 v35, v28, 0x3f737871, v31
	v_mul_f32_e32 v22, 0xbf737871, v58
	s_delay_alu instid0(VALU_DEP_4) | instskip(NEXT) | instid1(VALU_DEP_4)
	v_fmac_f32_e32 v14, 0x3f737871, v57
	v_fmac_f32_e32 v23, 0x3e9e377a, v26
	;; [unrolled: 1-line block ×5, first 2 shown]
	s_delay_alu instid0(VALU_DEP_3) | instskip(NEXT) | instid1(VALU_DEP_3)
	v_dual_add_f32 v32, v69, v70 :: v_dual_fmac_f32 v31, 0xbf167918, v68
	v_fmac_f32_e32 v35, 0x3e9e377a, v4
	s_delay_alu instid0(VALU_DEP_2) | instskip(SKIP_3) | instid1(VALU_DEP_3)
	v_fmac_f32_e32 v31, 0x3e9e377a, v4
	v_dual_add_f32 v4, v15, v8 :: v_dual_fmac_f32 v13, 0xbf167918, v18
	v_fmac_f32_e32 v10, 0x3e9e377a, v7
	v_dual_mul_f32 v18, 0x3f4f1bbd, v16 :: v_dual_add_f32 v15, v56, v14
	v_fmac_f32_e32 v13, 0x3e9e377a, v9
	v_fmac_f32_e32 v21, 0x3f167918, v11
	s_delay_alu instid0(VALU_DEP_2) | instskip(NEXT) | instid1(VALU_DEP_2)
	v_dual_add_f32 v11, v34, v30 :: v_dual_fmac_f32 v18, 0x3f167918, v13
	v_fmac_f32_e32 v21, 0x3e9e377a, v20
	s_delay_alu instid0(VALU_DEP_2)
	v_sub_f32_e32 v3, v11, v12
	v_dual_add_f32 v5, v11, v12 :: v_dual_mul_f32 v12, 0xbf4f1bbd, v37
	v_mul_f32_e32 v20, 0xbf167918, v37
	v_dual_fmac_f32 v22, 0xbe9e377a, v57 :: v_dual_sub_f32 v11, v10, v18
	global_store_b64 v[38:39], v[4:5], off
	v_fmac_f32_e32 v12, 0x3f167918, v36
	v_fmac_f32_e32 v20, 0xbf4f1bbd, v36
	;; [unrolled: 1-line block ×3, first 2 shown]
	v_dual_fmac_f32 v24, 0x3f4f1bbd, v13 :: v_dual_sub_f32 v7, v56, v14
	s_delay_alu instid0(VALU_DEP_2) | instskip(SKIP_2) | instid1(VALU_DEP_4)
	v_add_f32_e32 v13, v19, v12
	v_mul_f32_e32 v17, 0x3e9e377a, v6
	v_sub_f32_e32 v5, v19, v12
	v_dual_add_f32 v19, v10, v18 :: v_dual_sub_f32 v10, v31, v24
	s_delay_alu instid0(VALU_DEP_3) | instskip(NEXT) | instid1(VALU_DEP_1)
	v_dual_add_f32 v18, v31, v24 :: v_dual_fmac_f32 v17, 0x3f737871, v26
	v_sub_f32_e32 v9, v21, v17
	v_dual_fmamk_f32 v59, v68, 0xbf737871, v33 :: v_dual_sub_f32 v4, v35, v20
	v_dual_add_f32 v17, v21, v17 :: v_dual_add_f32 v12, v35, v20
	s_delay_alu instid0(VALU_DEP_2) | instskip(NEXT) | instid1(VALU_DEP_1)
	v_fmac_f32_e32 v59, 0x3f167918, v28
	v_fmac_f32_e32 v59, 0x3e9e377a, v32
	s_delay_alu instid0(VALU_DEP_1) | instskip(NEXT) | instid1(VALU_DEP_1)
	v_dual_fmac_f32 v33, 0x3f737871, v68 :: v_dual_sub_f32 v6, v59, v22
	v_dual_fmac_f32 v33, 0xbf167918, v28 :: v_dual_add_f32 v14, v59, v22
	s_delay_alu instid0(VALU_DEP_1) | instskip(NEXT) | instid1(VALU_DEP_1)
	v_fmac_f32_e32 v33, 0x3e9e377a, v32
	v_add_f32_e32 v16, v33, v23
	v_sub_f32_e32 v8, v33, v23
	s_clause 0x8
	global_store_b64 v[0:1], v[18:19], off
	global_store_b64 v[40:41], v[16:17], off
	;; [unrolled: 1-line block ×9, first 2 shown]
.LBB0_28:
	s_nop 0
	s_sendmsg sendmsg(MSG_DEALLOC_VGPRS)
	s_endpgm
	.section	.rodata,"a",@progbits
	.p2align	6, 0x0
	.amdhsa_kernel fft_rtc_back_len90_factors_3_3_10_wgs_63_tpt_9_halfLds_sp_ip_CI_sbrr_dirReg
		.amdhsa_group_segment_fixed_size 0
		.amdhsa_private_segment_fixed_size 0
		.amdhsa_kernarg_size 88
		.amdhsa_user_sgpr_count 15
		.amdhsa_user_sgpr_dispatch_ptr 0
		.amdhsa_user_sgpr_queue_ptr 0
		.amdhsa_user_sgpr_kernarg_segment_ptr 1
		.amdhsa_user_sgpr_dispatch_id 0
		.amdhsa_user_sgpr_private_segment_size 0
		.amdhsa_wavefront_size32 1
		.amdhsa_uses_dynamic_stack 0
		.amdhsa_enable_private_segment 0
		.amdhsa_system_sgpr_workgroup_id_x 1
		.amdhsa_system_sgpr_workgroup_id_y 0
		.amdhsa_system_sgpr_workgroup_id_z 0
		.amdhsa_system_sgpr_workgroup_info 0
		.amdhsa_system_vgpr_workitem_id 0
		.amdhsa_next_free_vgpr 74
		.amdhsa_next_free_sgpr 23
		.amdhsa_reserve_vcc 1
		.amdhsa_float_round_mode_32 0
		.amdhsa_float_round_mode_16_64 0
		.amdhsa_float_denorm_mode_32 3
		.amdhsa_float_denorm_mode_16_64 3
		.amdhsa_dx10_clamp 1
		.amdhsa_ieee_mode 1
		.amdhsa_fp16_overflow 0
		.amdhsa_workgroup_processor_mode 1
		.amdhsa_memory_ordered 1
		.amdhsa_forward_progress 0
		.amdhsa_shared_vgpr_count 0
		.amdhsa_exception_fp_ieee_invalid_op 0
		.amdhsa_exception_fp_denorm_src 0
		.amdhsa_exception_fp_ieee_div_zero 0
		.amdhsa_exception_fp_ieee_overflow 0
		.amdhsa_exception_fp_ieee_underflow 0
		.amdhsa_exception_fp_ieee_inexact 0
		.amdhsa_exception_int_div_zero 0
	.end_amdhsa_kernel
	.text
.Lfunc_end0:
	.size	fft_rtc_back_len90_factors_3_3_10_wgs_63_tpt_9_halfLds_sp_ip_CI_sbrr_dirReg, .Lfunc_end0-fft_rtc_back_len90_factors_3_3_10_wgs_63_tpt_9_halfLds_sp_ip_CI_sbrr_dirReg
                                        ; -- End function
	.section	.AMDGPU.csdata,"",@progbits
; Kernel info:
; codeLenInByte = 6124
; NumSgprs: 25
; NumVgprs: 74
; ScratchSize: 0
; MemoryBound: 0
; FloatMode: 240
; IeeeMode: 1
; LDSByteSize: 0 bytes/workgroup (compile time only)
; SGPRBlocks: 3
; VGPRBlocks: 9
; NumSGPRsForWavesPerEU: 25
; NumVGPRsForWavesPerEU: 74
; Occupancy: 16
; WaveLimiterHint : 1
; COMPUTE_PGM_RSRC2:SCRATCH_EN: 0
; COMPUTE_PGM_RSRC2:USER_SGPR: 15
; COMPUTE_PGM_RSRC2:TRAP_HANDLER: 0
; COMPUTE_PGM_RSRC2:TGID_X_EN: 1
; COMPUTE_PGM_RSRC2:TGID_Y_EN: 0
; COMPUTE_PGM_RSRC2:TGID_Z_EN: 0
; COMPUTE_PGM_RSRC2:TIDIG_COMP_CNT: 0
	.text
	.p2alignl 7, 3214868480
	.fill 96, 4, 3214868480
	.type	__hip_cuid_dbad4d6f7a1eeb50,@object ; @__hip_cuid_dbad4d6f7a1eeb50
	.section	.bss,"aw",@nobits
	.globl	__hip_cuid_dbad4d6f7a1eeb50
__hip_cuid_dbad4d6f7a1eeb50:
	.byte	0                               ; 0x0
	.size	__hip_cuid_dbad4d6f7a1eeb50, 1

	.ident	"AMD clang version 19.0.0git (https://github.com/RadeonOpenCompute/llvm-project roc-6.4.0 25133 c7fe45cf4b819c5991fe208aaa96edf142730f1d)"
	.section	".note.GNU-stack","",@progbits
	.addrsig
	.addrsig_sym __hip_cuid_dbad4d6f7a1eeb50
	.amdgpu_metadata
---
amdhsa.kernels:
  - .args:
      - .actual_access:  read_only
        .address_space:  global
        .offset:         0
        .size:           8
        .value_kind:     global_buffer
      - .offset:         8
        .size:           8
        .value_kind:     by_value
      - .actual_access:  read_only
        .address_space:  global
        .offset:         16
        .size:           8
        .value_kind:     global_buffer
      - .actual_access:  read_only
        .address_space:  global
        .offset:         24
        .size:           8
        .value_kind:     global_buffer
      - .offset:         32
        .size:           8
        .value_kind:     by_value
      - .actual_access:  read_only
        .address_space:  global
        .offset:         40
        .size:           8
        .value_kind:     global_buffer
      - .actual_access:  read_only
        .address_space:  global
        .offset:         48
        .size:           8
        .value_kind:     global_buffer
      - .offset:         56
        .size:           4
        .value_kind:     by_value
      - .actual_access:  read_only
        .address_space:  global
        .offset:         64
        .size:           8
        .value_kind:     global_buffer
      - .actual_access:  read_only
        .address_space:  global
        .offset:         72
        .size:           8
        .value_kind:     global_buffer
      - .address_space:  global
        .offset:         80
        .size:           8
        .value_kind:     global_buffer
    .group_segment_fixed_size: 0
    .kernarg_segment_align: 8
    .kernarg_segment_size: 88
    .language:       OpenCL C
    .language_version:
      - 2
      - 0
    .max_flat_workgroup_size: 63
    .name:           fft_rtc_back_len90_factors_3_3_10_wgs_63_tpt_9_halfLds_sp_ip_CI_sbrr_dirReg
    .private_segment_fixed_size: 0
    .sgpr_count:     25
    .sgpr_spill_count: 0
    .symbol:         fft_rtc_back_len90_factors_3_3_10_wgs_63_tpt_9_halfLds_sp_ip_CI_sbrr_dirReg.kd
    .uniform_work_group_size: 1
    .uses_dynamic_stack: false
    .vgpr_count:     74
    .vgpr_spill_count: 0
    .wavefront_size: 32
    .workgroup_processor_mode: 1
amdhsa.target:   amdgcn-amd-amdhsa--gfx1100
amdhsa.version:
  - 1
  - 2
...

	.end_amdgpu_metadata
